;; amdgpu-corpus repo=ROCm/rocFFT kind=compiled arch=gfx906 opt=O3
	.text
	.amdgcn_target "amdgcn-amd-amdhsa--gfx906"
	.amdhsa_code_object_version 6
	.protected	fft_rtc_back_len100_factors_10_10_wgs_60_tpt_10_halfLds_half_op_CI_CI_unitstride_sbrr_dirReg ; -- Begin function fft_rtc_back_len100_factors_10_10_wgs_60_tpt_10_halfLds_half_op_CI_CI_unitstride_sbrr_dirReg
	.globl	fft_rtc_back_len100_factors_10_10_wgs_60_tpt_10_halfLds_half_op_CI_CI_unitstride_sbrr_dirReg
	.p2align	8
	.type	fft_rtc_back_len100_factors_10_10_wgs_60_tpt_10_halfLds_half_op_CI_CI_unitstride_sbrr_dirReg,@function
fft_rtc_back_len100_factors_10_10_wgs_60_tpt_10_halfLds_half_op_CI_CI_unitstride_sbrr_dirReg: ; @fft_rtc_back_len100_factors_10_10_wgs_60_tpt_10_halfLds_half_op_CI_CI_unitstride_sbrr_dirReg
; %bb.0:
	v_mul_u32_u24_e32 v1, 0x199a, v0
	s_load_dwordx4 s[8:11], s[4:5], 0x58
	s_load_dwordx4 s[12:15], s[4:5], 0x0
	;; [unrolled: 1-line block ×3, first 2 shown]
	v_lshrrev_b32_e32 v1, 16, v1
	v_mad_u64_u32 v[6:7], s[0:1], s6, 6, v[1:2]
	v_mov_b32_e32 v3, 0
	s_waitcnt lgkmcnt(0)
	v_cmp_lt_u64_e64 s[0:1], s[14:15], 2
	v_mov_b32_e32 v8, 0
	v_mov_b32_e32 v7, v3
	;; [unrolled: 1-line block ×5, first 2 shown]
	s_and_b64 vcc, exec, s[0:1]
	v_mov_b32_e32 v2, v9
	v_mov_b32_e32 v5, v7
	s_cbranch_vccnz .LBB0_8
; %bb.1:
	s_load_dwordx2 s[0:1], s[4:5], 0x10
	s_add_u32 s2, s18, 8
	s_addc_u32 s3, s19, 0
	s_add_u32 s6, s16, 8
	s_addc_u32 s7, s17, 0
	v_mov_b32_e32 v8, 0
	s_waitcnt lgkmcnt(0)
	s_add_u32 s20, s0, 8
	v_mov_b32_e32 v9, 0
	v_mov_b32_e32 v1, v8
	;; [unrolled: 1-line block ×3, first 2 shown]
	s_addc_u32 s21, s1, 0
	s_mov_b64 s[22:23], 1
	v_mov_b32_e32 v2, v9
	v_mov_b32_e32 v10, v6
.LBB0_2:                                ; =>This Inner Loop Header: Depth=1
	s_load_dwordx2 s[24:25], s[20:21], 0x0
	s_waitcnt lgkmcnt(0)
	v_or_b32_e32 v4, s25, v11
	v_cmp_ne_u64_e32 vcc, 0, v[3:4]
                                        ; implicit-def: $vgpr4_vgpr5
	s_and_saveexec_b64 s[0:1], vcc
	s_xor_b64 s[26:27], exec, s[0:1]
	s_cbranch_execz .LBB0_4
; %bb.3:                                ;   in Loop: Header=BB0_2 Depth=1
	v_cvt_f32_u32_e32 v4, s24
	v_cvt_f32_u32_e32 v5, s25
	s_sub_u32 s0, 0, s24
	s_subb_u32 s1, 0, s25
	v_mac_f32_e32 v4, 0x4f800000, v5
	v_rcp_f32_e32 v4, v4
	v_mul_f32_e32 v4, 0x5f7ffffc, v4
	v_mul_f32_e32 v5, 0x2f800000, v4
	v_trunc_f32_e32 v5, v5
	v_mac_f32_e32 v4, 0xcf800000, v5
	v_cvt_u32_f32_e32 v5, v5
	v_cvt_u32_f32_e32 v4, v4
	v_mul_lo_u32 v7, s0, v5
	v_mul_hi_u32 v12, s0, v4
	v_mul_lo_u32 v14, s1, v4
	v_mul_lo_u32 v13, s0, v4
	v_add_u32_e32 v7, v12, v7
	v_add_u32_e32 v7, v7, v14
	v_mul_hi_u32 v12, v4, v13
	v_mul_lo_u32 v14, v4, v7
	v_mul_hi_u32 v16, v4, v7
	v_mul_hi_u32 v15, v5, v13
	v_mul_lo_u32 v13, v5, v13
	v_mul_hi_u32 v17, v5, v7
	v_add_co_u32_e32 v12, vcc, v12, v14
	v_addc_co_u32_e32 v14, vcc, 0, v16, vcc
	v_mul_lo_u32 v7, v5, v7
	v_add_co_u32_e32 v12, vcc, v12, v13
	v_addc_co_u32_e32 v12, vcc, v14, v15, vcc
	v_addc_co_u32_e32 v13, vcc, 0, v17, vcc
	v_add_co_u32_e32 v7, vcc, v12, v7
	v_addc_co_u32_e32 v12, vcc, 0, v13, vcc
	v_add_co_u32_e32 v4, vcc, v4, v7
	v_addc_co_u32_e32 v5, vcc, v5, v12, vcc
	v_mul_lo_u32 v7, s0, v5
	v_mul_hi_u32 v12, s0, v4
	v_mul_lo_u32 v13, s1, v4
	v_mul_lo_u32 v14, s0, v4
	v_add_u32_e32 v7, v12, v7
	v_add_u32_e32 v7, v7, v13
	v_mul_lo_u32 v15, v4, v7
	v_mul_hi_u32 v16, v4, v14
	v_mul_hi_u32 v17, v4, v7
	;; [unrolled: 1-line block ×3, first 2 shown]
	v_mul_lo_u32 v14, v5, v14
	v_mul_hi_u32 v12, v5, v7
	v_add_co_u32_e32 v15, vcc, v16, v15
	v_addc_co_u32_e32 v16, vcc, 0, v17, vcc
	v_mul_lo_u32 v7, v5, v7
	v_add_co_u32_e32 v14, vcc, v15, v14
	v_addc_co_u32_e32 v13, vcc, v16, v13, vcc
	v_addc_co_u32_e32 v12, vcc, 0, v12, vcc
	v_add_co_u32_e32 v7, vcc, v13, v7
	v_addc_co_u32_e32 v12, vcc, 0, v12, vcc
	v_add_co_u32_e32 v7, vcc, v4, v7
	v_addc_co_u32_e32 v12, vcc, v5, v12, vcc
	v_mad_u64_u32 v[4:5], s[0:1], v10, v12, 0
	v_mul_hi_u32 v13, v10, v7
	v_add_co_u32_e32 v14, vcc, v13, v4
	v_addc_co_u32_e32 v15, vcc, 0, v5, vcc
	v_mad_u64_u32 v[4:5], s[0:1], v11, v7, 0
	v_mad_u64_u32 v[12:13], s[0:1], v11, v12, 0
	v_add_co_u32_e32 v4, vcc, v14, v4
	v_addc_co_u32_e32 v4, vcc, v15, v5, vcc
	v_addc_co_u32_e32 v5, vcc, 0, v13, vcc
	v_add_co_u32_e32 v7, vcc, v4, v12
	v_addc_co_u32_e32 v12, vcc, 0, v5, vcc
	v_mul_lo_u32 v13, s25, v7
	v_mul_lo_u32 v14, s24, v12
	v_mad_u64_u32 v[4:5], s[0:1], s24, v7, 0
	v_add3_u32 v5, v5, v14, v13
	v_sub_u32_e32 v13, v11, v5
	v_mov_b32_e32 v14, s25
	v_sub_co_u32_e32 v4, vcc, v10, v4
	v_subb_co_u32_e64 v13, s[0:1], v13, v14, vcc
	v_subrev_co_u32_e64 v14, s[0:1], s24, v4
	v_subbrev_co_u32_e64 v13, s[0:1], 0, v13, s[0:1]
	v_cmp_le_u32_e64 s[0:1], s25, v13
	v_cndmask_b32_e64 v15, 0, -1, s[0:1]
	v_cmp_le_u32_e64 s[0:1], s24, v14
	v_cndmask_b32_e64 v14, 0, -1, s[0:1]
	v_cmp_eq_u32_e64 s[0:1], s25, v13
	v_cndmask_b32_e64 v13, v15, v14, s[0:1]
	v_add_co_u32_e64 v14, s[0:1], 2, v7
	v_addc_co_u32_e64 v15, s[0:1], 0, v12, s[0:1]
	v_add_co_u32_e64 v16, s[0:1], 1, v7
	v_addc_co_u32_e64 v17, s[0:1], 0, v12, s[0:1]
	v_subb_co_u32_e32 v5, vcc, v11, v5, vcc
	v_cmp_ne_u32_e64 s[0:1], 0, v13
	v_cmp_le_u32_e32 vcc, s25, v5
	v_cndmask_b32_e64 v13, v17, v15, s[0:1]
	v_cndmask_b32_e64 v15, 0, -1, vcc
	v_cmp_le_u32_e32 vcc, s24, v4
	v_cndmask_b32_e64 v4, 0, -1, vcc
	v_cmp_eq_u32_e32 vcc, s25, v5
	v_cndmask_b32_e32 v4, v15, v4, vcc
	v_cmp_ne_u32_e32 vcc, 0, v4
	v_cndmask_b32_e64 v4, v16, v14, s[0:1]
	v_cndmask_b32_e32 v5, v12, v13, vcc
	v_cndmask_b32_e32 v4, v7, v4, vcc
.LBB0_4:                                ;   in Loop: Header=BB0_2 Depth=1
	s_andn2_saveexec_b64 s[0:1], s[26:27]
	s_cbranch_execz .LBB0_6
; %bb.5:                                ;   in Loop: Header=BB0_2 Depth=1
	v_cvt_f32_u32_e32 v4, s24
	s_sub_i32 s26, 0, s24
	v_rcp_iflag_f32_e32 v4, v4
	v_mul_f32_e32 v4, 0x4f7ffffe, v4
	v_cvt_u32_f32_e32 v4, v4
	v_mul_lo_u32 v5, s26, v4
	v_mul_hi_u32 v5, v4, v5
	v_add_u32_e32 v4, v4, v5
	v_mul_hi_u32 v4, v10, v4
	v_mul_lo_u32 v5, v4, s24
	v_add_u32_e32 v7, 1, v4
	v_sub_u32_e32 v5, v10, v5
	v_subrev_u32_e32 v12, s24, v5
	v_cmp_le_u32_e32 vcc, s24, v5
	v_cndmask_b32_e32 v5, v5, v12, vcc
	v_cndmask_b32_e32 v4, v4, v7, vcc
	v_add_u32_e32 v7, 1, v4
	v_cmp_le_u32_e32 vcc, s24, v5
	v_cndmask_b32_e32 v4, v4, v7, vcc
	v_mov_b32_e32 v5, v3
.LBB0_6:                                ;   in Loop: Header=BB0_2 Depth=1
	s_or_b64 exec, exec, s[0:1]
	v_mul_lo_u32 v7, v5, s24
	v_mul_lo_u32 v14, v4, s25
	v_mad_u64_u32 v[12:13], s[0:1], v4, s24, 0
	s_load_dwordx2 s[0:1], s[6:7], 0x0
	s_load_dwordx2 s[24:25], s[2:3], 0x0
	v_add3_u32 v7, v13, v14, v7
	v_sub_co_u32_e32 v10, vcc, v10, v12
	v_subb_co_u32_e32 v7, vcc, v11, v7, vcc
	s_waitcnt lgkmcnt(0)
	v_mul_lo_u32 v11, s0, v7
	v_mul_lo_u32 v12, s1, v10
	v_mad_u64_u32 v[8:9], s[0:1], s0, v10, v[8:9]
	s_add_u32 s22, s22, 1
	s_addc_u32 s23, s23, 0
	s_add_u32 s2, s2, 8
	v_mul_lo_u32 v7, s24, v7
	v_mul_lo_u32 v13, s25, v10
	v_mad_u64_u32 v[1:2], s[0:1], s24, v10, v[1:2]
	v_add3_u32 v9, v12, v9, v11
	s_addc_u32 s3, s3, 0
	v_mov_b32_e32 v10, s14
	s_add_u32 s6, s6, 8
	v_mov_b32_e32 v11, s15
	s_addc_u32 s7, s7, 0
	v_cmp_ge_u64_e32 vcc, s[22:23], v[10:11]
	s_add_u32 s20, s20, 8
	v_add3_u32 v2, v13, v2, v7
	s_addc_u32 s21, s21, 0
	s_cbranch_vccnz .LBB0_8
; %bb.7:                                ;   in Loop: Header=BB0_2 Depth=1
	v_mov_b32_e32 v11, v5
	v_mov_b32_e32 v10, v4
	s_branch .LBB0_2
.LBB0_8:
	s_load_dwordx2 s[0:1], s[4:5], 0x28
	s_lshl_b64 s[6:7], s[14:15], 3
	s_add_u32 s2, s18, s6
	s_addc_u32 s3, s19, s7
                                        ; implicit-def: $sgpr14
                                        ; implicit-def: $vgpr7
	s_waitcnt lgkmcnt(0)
	v_cmp_gt_u64_e32 vcc, s[0:1], v[4:5]
	v_cmp_le_u64_e64 s[0:1], s[0:1], v[4:5]
	s_and_saveexec_b64 s[4:5], s[0:1]
	s_xor_b64 s[0:1], exec, s[4:5]
; %bb.9:
	s_mov_b32 s4, 0x1999999a
	v_mul_hi_u32 v3, v0, s4
	s_mov_b32 s14, 0
                                        ; implicit-def: $vgpr8_vgpr9
	v_mul_u32_u24_e32 v3, 10, v3
	v_sub_u32_e32 v7, v0, v3
                                        ; implicit-def: $vgpr0
; %bb.10:
	s_or_saveexec_b64 s[4:5], s[0:1]
	v_mov_b32_e32 v3, s14
                                        ; implicit-def: $vgpr12
                                        ; implicit-def: $vgpr18
                                        ; implicit-def: $vgpr23
                                        ; implicit-def: $vgpr26
                                        ; implicit-def: $vgpr13
                                        ; implicit-def: $vgpr14
                                        ; implicit-def: $vgpr24
                                        ; implicit-def: $vgpr22
                                        ; implicit-def: $vgpr15
                                        ; implicit-def: $vgpr11
                                        ; implicit-def: $vgpr27
                                        ; implicit-def: $vgpr21
                                        ; implicit-def: $vgpr17
                                        ; implicit-def: $vgpr10
                                        ; implicit-def: $vgpr28
                                        ; implicit-def: $vgpr20
                                        ; implicit-def: $vgpr19
                                        ; implicit-def: $vgpr16
                                        ; implicit-def: $vgpr29
                                        ; implicit-def: $vgpr25
	s_xor_b64 exec, exec, s[4:5]
	s_cbranch_execz .LBB0_12
; %bb.11:
	s_add_u32 s0, s16, s6
	s_addc_u32 s1, s17, s7
	s_load_dwordx2 s[0:1], s[0:1], 0x0
	s_mov_b32 s6, 0x1999999a
	v_mul_hi_u32 v3, v0, s6
	v_lshlrev_b64 v[8:9], 2, v[8:9]
	s_waitcnt lgkmcnt(0)
	v_mul_lo_u32 v12, s1, v4
	v_mul_lo_u32 v13, s0, v5
	v_mad_u64_u32 v[10:11], s[0:1], s0, v4, 0
	v_mul_u32_u24_e32 v3, 10, v3
	v_sub_u32_e32 v7, v0, v3
	v_add3_u32 v11, v11, v13, v12
	v_lshlrev_b64 v[10:11], 2, v[10:11]
	v_mov_b32_e32 v0, s9
	v_add_co_u32_e64 v3, s[0:1], s8, v10
	v_addc_co_u32_e64 v0, s[0:1], v0, v11, s[0:1]
	v_add_co_u32_e64 v3, s[0:1], v3, v8
	v_addc_co_u32_e64 v0, s[0:1], v0, v9, s[0:1]
	v_lshlrev_b32_e32 v8, 2, v7
	v_add_co_u32_e64 v8, s[0:1], v3, v8
	v_addc_co_u32_e64 v9, s[0:1], 0, v0, s[0:1]
	global_load_dword v25, v[8:9], off
	global_load_dword v16, v[8:9], off offset:40
	global_load_dword v20, v[8:9], off offset:80
	global_load_dword v10, v[8:9], off offset:120
	global_load_dword v21, v[8:9], off offset:160
	global_load_dword v11, v[8:9], off offset:200
	global_load_dword v22, v[8:9], off offset:240
	global_load_dword v14, v[8:9], off offset:280
	global_load_dword v26, v[8:9], off offset:320
	global_load_dword v18, v[8:9], off offset:360
	v_mov_b32_e32 v3, v7
	s_waitcnt vmcnt(9)
	v_lshrrev_b32_e32 v29, 16, v25
	s_waitcnt vmcnt(8)
	v_lshrrev_b32_e32 v19, 16, v16
	;; [unrolled: 2-line block ×10, first 2 shown]
.LBB0_12:
	s_or_b64 exec, exec, s[4:5]
	s_mov_b32 s0, 0xaaaaaaab
	v_mul_hi_u32 v0, v6, s0
	v_add_f16_e32 v8, v22, v21
	v_sub_f16_e32 v9, v28, v23
	s_mov_b32 s4, 0xbb9c
	v_lshrrev_b32_e32 v0, 2, v0
	v_mul_lo_u32 v0, v0, 6
	v_fma_f16 v8, v8, -0.5, v25
	v_sub_f16_e32 v30, v27, v24
	v_fma_f16 v31, v9, s4, v8
	s_mov_b32 s5, 0xb8b4
	s_movk_i32 s8, 0x3b9c
	v_sub_u32_e32 v0, v6, v0
	v_fma_f16 v6, v30, s5, v31
	v_sub_f16_e32 v31, v20, v21
	v_sub_f16_e32 v32, v26, v22
	v_fma_f16 v8, v9, s8, v8
	s_movk_i32 s7, 0x38b4
	v_add_f16_e32 v31, v32, v31
	s_movk_i32 s6, 0x34f2
	v_fma_f16 v8, v30, s7, v8
	v_fma_f16 v6, v31, s6, v6
	;; [unrolled: 1-line block ×3, first 2 shown]
	v_sub_f16_e32 v31, v21, v20
	v_sub_f16_e32 v32, v22, v26
	v_add_f16_e32 v31, v32, v31
	v_add_f16_e32 v32, v26, v20
	v_fma_f16 v32, v32, -0.5, v25
	v_fma_f16 v33, v30, s8, v32
	v_fma_f16 v30, v30, s4, v32
	v_add_f16_e32 v25, v20, v25
	v_add_f16_e32 v25, v21, v25
	v_fma_f16 v32, v9, s5, v33
	v_fma_f16 v9, v9, s7, v30
	v_add_f16_e32 v25, v22, v25
	v_fma_f16 v32, v31, s6, v32
	v_fma_f16 v9, v31, s6, v9
	v_add_f16_e32 v31, v24, v27
	v_add_f16_e32 v25, v26, v25
	v_fma_f16 v31, v31, -0.5, v29
	v_sub_f16_e32 v20, v20, v26
	v_sub_f16_e32 v21, v21, v22
	;; [unrolled: 1-line block ×4, first 2 shown]
	v_add_f16_e32 v22, v26, v22
	v_fma_f16 v26, v20, s8, v31
	v_fma_f16 v31, v20, s4, v31
	v_add_f16_e32 v30, v28, v29
	v_fma_f16 v26, v21, s7, v26
	v_fma_f16 v31, v21, s5, v31
	;; [unrolled: 3-line block ×3, first 2 shown]
	v_add_f16_e32 v31, v23, v28
	v_add_f16_e32 v30, v24, v30
	v_fma_f16 v29, v31, -0.5, v29
	v_add_f16_e32 v30, v23, v30
	v_fma_f16 v31, v21, s4, v29
	v_sub_f16_e32 v27, v27, v28
	v_sub_f16_e32 v23, v24, v23
	v_fma_f16 v21, v21, s8, v29
	v_fma_f16 v31, v20, s7, v31
	v_add_f16_e32 v23, v23, v27
	v_fma_f16 v20, v20, s5, v21
	v_add_f16_e32 v21, v14, v11
	v_fma_f16 v24, v23, s6, v31
	v_fma_f16 v20, v23, s6, v20
	v_fma_f16 v21, v21, -0.5, v16
	v_sub_f16_e32 v23, v17, v12
	v_fma_f16 v27, v23, s4, v21
	v_sub_f16_e32 v28, v15, v13
	v_sub_f16_e32 v29, v10, v11
	;; [unrolled: 1-line block ×3, first 2 shown]
	v_fma_f16 v21, v23, s8, v21
	v_fma_f16 v27, v28, s5, v27
	v_add_f16_e32 v29, v31, v29
	v_fma_f16 v21, v28, s7, v21
	v_fma_f16 v27, v29, s6, v27
	;; [unrolled: 1-line block ×3, first 2 shown]
	v_sub_f16_e32 v29, v11, v10
	v_sub_f16_e32 v31, v14, v18
	v_add_f16_e32 v29, v31, v29
	v_add_f16_e32 v31, v18, v10
	v_fma_f16 v31, v31, -0.5, v16
	v_fma_f16 v33, v28, s8, v31
	v_fma_f16 v28, v28, s4, v31
	v_add_f16_e32 v16, v10, v16
	v_add_f16_e32 v16, v11, v16
	v_fma_f16 v31, v23, s5, v33
	v_fma_f16 v23, v23, s7, v28
	v_add_f16_e32 v16, v14, v16
	v_fma_f16 v31, v29, s6, v31
	v_fma_f16 v23, v29, s6, v23
	v_add_f16_e32 v29, v13, v15
	v_add_f16_e32 v16, v18, v16
	v_fma_f16 v29, v29, -0.5, v19
	v_sub_f16_e32 v10, v10, v18
	v_sub_f16_e32 v11, v11, v14
	;; [unrolled: 1-line block ×4, first 2 shown]
	v_add_f16_e32 v14, v18, v14
	v_fma_f16 v18, v10, s8, v29
	v_fma_f16 v29, v10, s4, v29
	v_add_f16_e32 v28, v17, v19
	v_fma_f16 v18, v11, s7, v18
	v_fma_f16 v29, v11, s5, v29
	;; [unrolled: 3-line block ×3, first 2 shown]
	v_add_f16_e32 v29, v12, v17
	v_add_f16_e32 v28, v13, v28
	v_fma_f16 v19, v29, -0.5, v19
	v_add_f16_e32 v28, v12, v28
	v_fma_f16 v29, v11, s4, v19
	v_sub_f16_e32 v15, v15, v17
	v_sub_f16_e32 v12, v13, v12
	v_fma_f16 v29, v10, s7, v29
	v_add_f16_e32 v12, v12, v15
	v_fma_f16 v11, v11, s8, v19
	v_fma_f16 v13, v12, s6, v29
	;; [unrolled: 1-line block ×4, first 2 shown]
	v_mul_f16_e32 v17, 0xbb9c, v13
	s_load_dwordx2 s[0:1], s[2:3], 0x0
	v_mul_f16_e32 v12, 0xb8b4, v18
	s_movk_i32 s2, 0x3a79
	v_fma_f16 v17, v31, s6, v17
	v_mul_f16_e32 v29, 0xbb9c, v10
	s_mov_b32 s3, 0xb4f2
	v_mul_f16_e32 v31, 0x3b9c, v31
	v_mul_f16_e32 v10, 0xb4f2, v10
	v_mul_u32_u24_e32 v0, 0x64, v0
	v_fma_f16 v12, v27, s2, v12
	v_fma_f16 v29, v23, s3, v29
	v_mul_f16_e32 v27, 0x38b4, v27
	v_fma_f16 v13, v13, s6, v31
	v_mul_f16_e32 v31, 0xb8b4, v14
	s_mov_b32 s9, 0xba79
	v_fma_f16 v10, v23, s8, v10
	v_add_f16_e32 v11, v16, v25
	v_add_f16_e32 v15, v6, v12
	;; [unrolled: 1-line block ×3, first 2 shown]
	v_fma_f16 v18, v18, s2, v27
	v_add_f16_e32 v27, v9, v29
	v_fma_f16 v31, v21, s9, v31
	v_sub_f16_e32 v6, v6, v12
	v_sub_f16_e32 v12, v32, v17
	v_add_f16_e32 v32, v20, v10
	v_sub_f16_e32 v20, v20, v10
	v_mul_u32_u24_e32 v10, 10, v7
	v_lshl_add_u32 v0, v0, 1, 0
	v_add_f16_e32 v23, v8, v31
	v_sub_f16_e32 v16, v25, v16
	v_add_f16_e32 v25, v26, v18
	v_sub_f16_e32 v18, v26, v18
	v_lshl_add_u32 v26, v10, 1, v0
	v_pack_b32_f16 v10, v19, v27
	v_pack_b32_f16 v11, v11, v15
	v_mul_f16_e32 v14, 0xba79, v14
	v_sub_f16_e32 v9, v9, v29
	v_sub_f16_e32 v8, v8, v31
	ds_write2_b32 v26, v11, v10 offset1:1
	v_pack_b32_f16 v6, v6, v12
	v_pack_b32_f16 v10, v23, v16
	v_fma_f16 v14, v21, s7, v14
	ds_write2_b32 v26, v10, v6 offset0:2 offset1:3
	v_pack_b32_f16 v6, v9, v8
	v_lshl_add_u32 v16, v7, 1, v0
	s_movk_i32 s14, 0xffee
	v_add_f16_e32 v33, v24, v13
	v_add_f16_e32 v29, v22, v14
	v_sub_f16_e32 v24, v24, v13
	v_sub_f16_e32 v22, v22, v14
	ds_write_b32 v26, v6 offset:16
	s_waitcnt lgkmcnt(0)
	; wave barrier
	s_waitcnt lgkmcnt(0)
	v_mad_i32_i24 v17, v7, s14, v26
	ds_read_u16 v0, v16
	ds_read_u16 v6, v17 offset:20
	ds_read_u16 v13, v17 offset:40
	;; [unrolled: 1-line block ×9, first 2 shown]
	v_add_f16_e32 v21, v28, v30
	v_sub_f16_e32 v28, v30, v28
	v_pack_b32_f16 v19, v33, v32
	v_pack_b32_f16 v21, v21, v25
	s_waitcnt lgkmcnt(0)
	; wave barrier
	s_waitcnt lgkmcnt(0)
	ds_write2_b32 v26, v21, v19 offset1:1
	v_pack_b32_f16 v18, v18, v24
	v_pack_b32_f16 v19, v29, v28
	ds_write2_b32 v26, v19, v18 offset0:2 offset1:3
	v_pack_b32_f16 v18, v20, v22
	ds_write_b32 v26, v18 offset:16
	s_waitcnt lgkmcnt(0)
	; wave barrier
	s_waitcnt lgkmcnt(0)
	s_and_saveexec_b64 s[14:15], vcc
	s_cbranch_execz .LBB0_14
; %bb.13:
	v_mul_u32_u24_e32 v7, 9, v7
	v_lshlrev_b32_e32 v7, 2, v7
	global_load_dwordx4 v[18:21], v7, s[12:13] offset:16
	global_load_dwordx4 v[22:25], v7, s[12:13]
	global_load_dword v28, v7, s[12:13] offset:32
	ds_read_u16 v7, v17 offset:140
	ds_read_u16 v29, v17 offset:120
	;; [unrolled: 1-line block ×5, first 2 shown]
	v_mul_lo_u32 v33, s1, v4
	v_mul_lo_u32 v5, s0, v5
	v_mad_u64_u32 v[26:27], s[0:1], s0, v4, 0
	ds_read_u16 v4, v17 offset:160
	ds_read_u16 v34, v17 offset:180
	ds_read_u16 v35, v17 offset:40
	ds_read_u16 v17, v17 offset:20
	ds_read_u16 v16, v16
	v_add3_u32 v27, v27, v5, v33
	s_waitcnt vmcnt(2)
	v_mul_f16_sdwa v36, v15, v21 dst_sel:DWORD dst_unused:UNUSED_PAD src0_sel:DWORD src1_sel:WORD_1
	v_mul_f16_sdwa v37, v14, v19 dst_sel:DWORD dst_unused:UNUSED_PAD src0_sel:DWORD src1_sel:WORD_1
	s_waitcnt lgkmcnt(4)
	v_mul_f16_sdwa v38, v4, v21 dst_sel:DWORD dst_unused:UNUSED_PAD src0_sel:DWORD src1_sel:WORD_1
	v_mul_f16_sdwa v39, v29, v19 dst_sel:DWORD dst_unused:UNUSED_PAD src0_sel:DWORD src1_sel:WORD_1
	s_waitcnt vmcnt(1)
	v_mul_f16_sdwa v42, v13, v23 dst_sel:DWORD dst_unused:UNUSED_PAD src0_sel:DWORD src1_sel:WORD_1
	v_fma_f16 v4, v4, v21, -v36
	s_waitcnt lgkmcnt(2)
	v_mul_f16_sdwa v36, v35, v23 dst_sel:DWORD dst_unused:UNUSED_PAD src0_sel:DWORD src1_sel:WORD_1
	v_fma_f16 v29, v29, v19, -v37
	v_mul_f16_sdwa v37, v12, v25 dst_sel:DWORD dst_unused:UNUSED_PAD src0_sel:DWORD src1_sel:WORD_1
	v_fma_f16 v15, v15, v21, v38
	v_mul_f16_sdwa v21, v31, v25 dst_sel:DWORD dst_unused:UNUSED_PAD src0_sel:DWORD src1_sel:WORD_1
	v_lshrrev_b32_e32 v5, 16, v18
	v_lshrrev_b32_e32 v33, 16, v20
	v_mul_f16_e32 v40, v9, v18
	v_mul_f16_e32 v41, v11, v20
	v_fma_f16 v14, v14, v19, v39
	v_lshrrev_b32_e32 v19, 16, v24
	v_fma_f16 v35, v35, v23, -v42
	v_mul_f16_e32 v38, v10, v24
	v_fma_f16 v13, v13, v23, v36
	v_lshrrev_b32_e32 v23, 16, v22
	v_fma_f16 v31, v31, v25, -v37
	v_fma_f16 v12, v12, v25, v21
	s_waitcnt vmcnt(0)
	v_lshrrev_b32_e32 v21, 16, v28
	v_mul_f16_e32 v25, v8, v28
	v_mul_f16_e32 v36, v6, v22
	;; [unrolled: 1-line block ×3, first 2 shown]
	v_fma_f16 v19, v32, v19, v38
	v_mul_f16_e32 v9, v9, v5
	v_mul_f16_e32 v11, v11, v33
	;; [unrolled: 1-line block ×3, first 2 shown]
	v_fma_f16 v5, v30, v5, v40
	v_fma_f16 v33, v7, v33, v41
	;; [unrolled: 1-line block ×3, first 2 shown]
	v_mul_f16_e32 v8, v8, v21
	s_waitcnt lgkmcnt(1)
	v_fma_f16 v23, v17, v23, v36
	v_fma_f16 v9, v30, v18, -v9
	v_fma_f16 v7, v7, v20, -v11
	;; [unrolled: 1-line block ×4, first 2 shown]
	v_sub_f16_e32 v11, v35, v31
	v_fma_f16 v8, v34, v28, -v8
	v_sub_f16_e32 v17, v4, v29
	v_sub_f16_e32 v18, v19, v5
	;; [unrolled: 1-line block ×7, first 2 shown]
	v_add_f16_e32 v30, v35, v4
	v_sub_f16_e32 v32, v12, v14
	v_add_f16_e32 v11, v11, v17
	v_add_f16_e32 v17, v18, v20
	;; [unrolled: 1-line block ×4, first 2 shown]
	v_sub_f16_e32 v21, v10, v9
	v_sub_f16_e32 v22, v8, v7
	;; [unrolled: 1-line block ×4, first 2 shown]
	s_waitcnt lgkmcnt(0)
	v_fma_f16 v30, v30, -0.5, v16
	v_sub_f16_e32 v34, v13, v15
	v_add_f16_e32 v21, v21, v22
	v_add_f16_e32 v22, v24, v28
	v_fma_f16 v24, v32, s8, v30
	v_fma_f16 v28, v32, s4, v30
	;; [unrolled: 1-line block ×6, first 2 shown]
	v_add_f16_e32 v28, v19, v25
	v_fma_f16 v28, v28, -0.5, v23
	v_sub_f16_e32 v36, v9, v7
	v_sub_f16_e32 v30, v10, v8
	v_fma_f16 v37, v36, s4, v28
	v_fma_f16 v28, v36, s8, v28
	;; [unrolled: 1-line block ×6, first 2 shown]
	v_add_f16_e32 v28, v10, v8
	v_fma_f16 v28, v28, -0.5, v6
	v_sub_f16_e32 v39, v5, v33
	v_sub_f16_e32 v38, v19, v25
	v_fma_f16 v40, v39, s8, v28
	v_fma_f16 v28, v39, s4, v28
	v_fma_f16 v40, v38, s5, v40
	v_fma_f16 v28, v38, s7, v28
	v_fma_f16 v40, v22, s6, v40
	v_fma_f16 v22, v22, s6, v28
	v_add_f16_e32 v28, v31, v29
	v_fma_f16 v28, v28, -0.5, v16
	v_fma_f16 v41, v34, s4, v28
	v_fma_f16 v28, v34, s8, v28
	v_fma_f16 v34, v32, s5, v41
	v_fma_f16 v28, v32, s7, v28
	v_fma_f16 v32, v11, s6, v34
	v_fma_f16 v11, v11, s6, v28
	v_add_f16_e32 v28, v5, v33
	v_fma_f16 v28, v28, -0.5, v23
	;; [unrolled: 8-line block ×3, first 2 shown]
	v_add_f16_e32 v6, v10, v6
	v_add_f16_e32 v6, v9, v6
	v_add_f16_e32 v6, v7, v6
	v_add_f16_e32 v6, v8, v6
	v_sub_f16_e32 v7, v13, v12
	v_sub_f16_e32 v8, v15, v14
	v_fma_f16 v34, v38, s4, v28
	v_add_f16_e32 v7, v7, v8
	v_add_f16_e32 v8, v35, v16
	v_fma_f16 v28, v38, s8, v28
	v_fma_f16 v34, v39, s5, v34
	v_add_f16_e32 v8, v31, v8
	v_sub_f16_e32 v9, v31, v29
	v_add_f16_e32 v31, v13, v15
	v_fma_f16 v28, v39, s7, v28
	v_fma_f16 v34, v21, s6, v34
	v_add_f16_e32 v8, v29, v8
	v_fma_f16 v31, v31, -0.5, v0
	v_fma_f16 v21, v21, s6, v28
	v_add_f16_e32 v8, v4, v8
	v_sub_f16_e32 v4, v35, v4
	v_mul_f16_e32 v10, 0xba79, v34
	v_mul_f16_e32 v16, 0xb8b4, v34
	v_sub_f16_e32 v28, v12, v13
	v_sub_f16_e32 v29, v14, v15
	v_fma_f16 v34, v9, s4, v31
	v_fma_f16 v31, v9, s8, v31
	v_add_f16_e32 v28, v28, v29
	v_fma_f16 v34, v4, s7, v34
	v_fma_f16 v31, v4, s5, v31
	;; [unrolled: 1-line block ×4, first 2 shown]
	v_mul_f16_e32 v31, 0x34f2, v22
	v_mul_f16_e32 v22, 0xbb9c, v22
	v_fma_f16 v31, v20, s8, v31
	v_fma_f16 v20, v20, s6, v22
	v_add_f16_e32 v22, v12, v14
	v_fma_f16 v22, v22, -0.5, v0
	v_add_f16_e32 v0, v0, v13
	v_add_f16_e32 v0, v0, v12
	;; [unrolled: 1-line block ×3, first 2 shown]
	v_fma_f16 v35, v4, s8, v22
	v_fma_f16 v4, v4, s4, v22
	v_add_f16_e32 v5, v5, v12
	v_fma_f16 v22, v9, s7, v35
	v_fma_f16 v4, v9, s5, v4
	v_add_f16_e32 v0, v0, v14
	v_add_f16_e32 v5, v33, v5
	v_fma_f16 v9, v7, s6, v22
	v_fma_f16 v4, v7, s6, v4
	v_mul_f16_e32 v7, 0x3a79, v21
	v_mul_f16_e32 v21, 0xb8b4, v21
	v_add_f16_e32 v0, v15, v0
	v_add_f16_e32 v5, v25, v5
	v_fma_f16 v7, v17, s7, v7
	v_fma_f16 v17, v17, s2, v21
	v_sub_f16_e32 v21, v8, v6
	v_add_f16_e32 v8, v8, v6
	v_sub_f16_e32 v23, v28, v20
	v_sub_f16_e32 v25, v0, v5
	v_add_f16_e32 v20, v28, v20
	v_add_f16_e32 v28, v0, v5
	v_lshlrev_b64 v[5:6], 2, v[26:27]
	v_mov_b32_e32 v0, s11
	v_add_co_u32_e32 v5, vcc, s10, v5
	v_addc_co_u32_e32 v6, vcc, v0, v6, vcc
	v_lshlrev_b64 v[0:1], 2, v[1:2]
	v_fma_f16 v16, v30, s9, v16
	v_sub_f16_e32 v22, v9, v16
	v_add_f16_e32 v9, v9, v16
	v_sub_f16_e32 v16, v4, v17
	v_add_f16_e32 v17, v4, v17
	v_mov_b32_e32 v4, 0
	v_add_co_u32_e32 v2, vcc, v5, v0
	v_addc_co_u32_e32 v5, vcc, v6, v1, vcc
	v_lshlrev_b64 v[0:1], 2, v[3:4]
	v_fma_f16 v10, v30, s7, v10
	v_add_co_u32_e32 v0, vcc, v2, v0
	v_mul_f16_e32 v29, 0xb4f2, v40
	v_mul_f16_e32 v30, 0xbb9c, v40
	v_sub_f16_e32 v15, v11, v7
	v_add_f16_e32 v7, v11, v7
	v_addc_co_u32_e32 v1, vcc, v5, v1, vcc
	v_pack_b32_f16 v2, v28, v8
	v_fma_f16 v29, v37, s8, v29
	v_fma_f16 v30, v37, s3, v30
	v_sub_f16_e32 v14, v18, v31
	v_add_f16_e32 v18, v18, v31
	global_store_dword v[0:1], v2, off
	v_pack_b32_f16 v2, v17, v7
	v_sub_f16_e32 v13, v24, v29
	v_add_f16_e32 v19, v24, v29
	v_add_f16_e32 v24, v34, v30
	global_store_dword v[0:1], v2, off offset:40
	v_pack_b32_f16 v2, v20, v18
	v_sub_f16_e32 v12, v32, v10
	v_add_f16_e32 v10, v32, v10
	global_store_dword v[0:1], v2, off offset:80
	v_pack_b32_f16 v2, v24, v19
	global_store_dword v[0:1], v2, off offset:120
	v_pack_b32_f16 v2, v9, v10
	;; [unrolled: 2-line block ×4, first 2 shown]
	v_sub_f16_e32 v11, v34, v30
	global_store_dword v[0:1], v2, off offset:240
	v_pack_b32_f16 v2, v23, v14
	global_store_dword v[0:1], v2, off offset:280
	v_pack_b32_f16 v2, v11, v13
	;; [unrolled: 2-line block ×3, first 2 shown]
	global_store_dword v[0:1], v2, off offset:360
.LBB0_14:
	s_endpgm
	.section	.rodata,"a",@progbits
	.p2align	6, 0x0
	.amdhsa_kernel fft_rtc_back_len100_factors_10_10_wgs_60_tpt_10_halfLds_half_op_CI_CI_unitstride_sbrr_dirReg
		.amdhsa_group_segment_fixed_size 0
		.amdhsa_private_segment_fixed_size 0
		.amdhsa_kernarg_size 104
		.amdhsa_user_sgpr_count 6
		.amdhsa_user_sgpr_private_segment_buffer 1
		.amdhsa_user_sgpr_dispatch_ptr 0
		.amdhsa_user_sgpr_queue_ptr 0
		.amdhsa_user_sgpr_kernarg_segment_ptr 1
		.amdhsa_user_sgpr_dispatch_id 0
		.amdhsa_user_sgpr_flat_scratch_init 0
		.amdhsa_user_sgpr_private_segment_size 0
		.amdhsa_uses_dynamic_stack 0
		.amdhsa_system_sgpr_private_segment_wavefront_offset 0
		.amdhsa_system_sgpr_workgroup_id_x 1
		.amdhsa_system_sgpr_workgroup_id_y 0
		.amdhsa_system_sgpr_workgroup_id_z 0
		.amdhsa_system_sgpr_workgroup_info 0
		.amdhsa_system_vgpr_workitem_id 0
		.amdhsa_next_free_vgpr 43
		.amdhsa_next_free_sgpr 28
		.amdhsa_reserve_vcc 1
		.amdhsa_reserve_flat_scratch 0
		.amdhsa_float_round_mode_32 0
		.amdhsa_float_round_mode_16_64 0
		.amdhsa_float_denorm_mode_32 3
		.amdhsa_float_denorm_mode_16_64 3
		.amdhsa_dx10_clamp 1
		.amdhsa_ieee_mode 1
		.amdhsa_fp16_overflow 0
		.amdhsa_exception_fp_ieee_invalid_op 0
		.amdhsa_exception_fp_denorm_src 0
		.amdhsa_exception_fp_ieee_div_zero 0
		.amdhsa_exception_fp_ieee_overflow 0
		.amdhsa_exception_fp_ieee_underflow 0
		.amdhsa_exception_fp_ieee_inexact 0
		.amdhsa_exception_int_div_zero 0
	.end_amdhsa_kernel
	.text
.Lfunc_end0:
	.size	fft_rtc_back_len100_factors_10_10_wgs_60_tpt_10_halfLds_half_op_CI_CI_unitstride_sbrr_dirReg, .Lfunc_end0-fft_rtc_back_len100_factors_10_10_wgs_60_tpt_10_halfLds_half_op_CI_CI_unitstride_sbrr_dirReg
                                        ; -- End function
	.section	.AMDGPU.csdata,"",@progbits
; Kernel info:
; codeLenInByte = 4296
; NumSgprs: 32
; NumVgprs: 43
; ScratchSize: 0
; MemoryBound: 0
; FloatMode: 240
; IeeeMode: 1
; LDSByteSize: 0 bytes/workgroup (compile time only)
; SGPRBlocks: 3
; VGPRBlocks: 10
; NumSGPRsForWavesPerEU: 32
; NumVGPRsForWavesPerEU: 43
; Occupancy: 5
; WaveLimiterHint : 1
; COMPUTE_PGM_RSRC2:SCRATCH_EN: 0
; COMPUTE_PGM_RSRC2:USER_SGPR: 6
; COMPUTE_PGM_RSRC2:TRAP_HANDLER: 0
; COMPUTE_PGM_RSRC2:TGID_X_EN: 1
; COMPUTE_PGM_RSRC2:TGID_Y_EN: 0
; COMPUTE_PGM_RSRC2:TGID_Z_EN: 0
; COMPUTE_PGM_RSRC2:TIDIG_COMP_CNT: 0
	.type	__hip_cuid_2082d4e22d77864a,@object ; @__hip_cuid_2082d4e22d77864a
	.section	.bss,"aw",@nobits
	.globl	__hip_cuid_2082d4e22d77864a
__hip_cuid_2082d4e22d77864a:
	.byte	0                               ; 0x0
	.size	__hip_cuid_2082d4e22d77864a, 1

	.ident	"AMD clang version 19.0.0git (https://github.com/RadeonOpenCompute/llvm-project roc-6.4.0 25133 c7fe45cf4b819c5991fe208aaa96edf142730f1d)"
	.section	".note.GNU-stack","",@progbits
	.addrsig
	.addrsig_sym __hip_cuid_2082d4e22d77864a
	.amdgpu_metadata
---
amdhsa.kernels:
  - .args:
      - .actual_access:  read_only
        .address_space:  global
        .offset:         0
        .size:           8
        .value_kind:     global_buffer
      - .offset:         8
        .size:           8
        .value_kind:     by_value
      - .actual_access:  read_only
        .address_space:  global
        .offset:         16
        .size:           8
        .value_kind:     global_buffer
      - .actual_access:  read_only
        .address_space:  global
        .offset:         24
        .size:           8
        .value_kind:     global_buffer
      - .actual_access:  read_only
        .address_space:  global
        .offset:         32
        .size:           8
        .value_kind:     global_buffer
      - .offset:         40
        .size:           8
        .value_kind:     by_value
      - .actual_access:  read_only
        .address_space:  global
        .offset:         48
        .size:           8
        .value_kind:     global_buffer
      - .actual_access:  read_only
        .address_space:  global
        .offset:         56
        .size:           8
        .value_kind:     global_buffer
      - .offset:         64
        .size:           4
        .value_kind:     by_value
      - .actual_access:  read_only
        .address_space:  global
        .offset:         72
        .size:           8
        .value_kind:     global_buffer
      - .actual_access:  read_only
        .address_space:  global
        .offset:         80
        .size:           8
        .value_kind:     global_buffer
      - .actual_access:  read_only
        .address_space:  global
        .offset:         88
        .size:           8
        .value_kind:     global_buffer
      - .actual_access:  write_only
        .address_space:  global
        .offset:         96
        .size:           8
        .value_kind:     global_buffer
    .group_segment_fixed_size: 0
    .kernarg_segment_align: 8
    .kernarg_segment_size: 104
    .language:       OpenCL C
    .language_version:
      - 2
      - 0
    .max_flat_workgroup_size: 60
    .name:           fft_rtc_back_len100_factors_10_10_wgs_60_tpt_10_halfLds_half_op_CI_CI_unitstride_sbrr_dirReg
    .private_segment_fixed_size: 0
    .sgpr_count:     32
    .sgpr_spill_count: 0
    .symbol:         fft_rtc_back_len100_factors_10_10_wgs_60_tpt_10_halfLds_half_op_CI_CI_unitstride_sbrr_dirReg.kd
    .uniform_work_group_size: 1
    .uses_dynamic_stack: false
    .vgpr_count:     43
    .vgpr_spill_count: 0
    .wavefront_size: 64
amdhsa.target:   amdgcn-amd-amdhsa--gfx906
amdhsa.version:
  - 1
  - 2
...

	.end_amdgpu_metadata
